;; amdgpu-corpus repo=ROCm/rocFFT kind=compiled arch=gfx906 opt=O3
	.text
	.amdgcn_target "amdgcn-amd-amdhsa--gfx906"
	.amdhsa_code_object_version 6
	.protected	bluestein_single_fwd_len960_dim1_sp_op_CI_CI ; -- Begin function bluestein_single_fwd_len960_dim1_sp_op_CI_CI
	.globl	bluestein_single_fwd_len960_dim1_sp_op_CI_CI
	.p2align	8
	.type	bluestein_single_fwd_len960_dim1_sp_op_CI_CI,@function
bluestein_single_fwd_len960_dim1_sp_op_CI_CI: ; @bluestein_single_fwd_len960_dim1_sp_op_CI_CI
; %bb.0:
	s_load_dwordx4 s[0:3], s[4:5], 0x28
	v_mul_u32_u24_e32 v1, 0x19a, v0
	v_add_u32_sdwa v56, s6, v1 dst_sel:DWORD dst_unused:UNUSED_PAD src0_sel:DWORD src1_sel:WORD_1
	v_mov_b32_e32 v57, 0
	s_waitcnt lgkmcnt(0)
	v_cmp_gt_u64_e32 vcc, s[0:1], v[56:57]
	s_and_saveexec_b64 s[0:1], vcc
	s_cbranch_execz .LBB0_23
; %bb.1:
	s_load_dwordx2 s[10:11], s[4:5], 0x0
	s_load_dwordx2 s[8:9], s[4:5], 0x38
	s_movk_i32 s0, 0xa0
	v_mul_lo_u16_sdwa v1, v1, s0 dst_sel:DWORD dst_unused:UNUSED_PAD src0_sel:WORD_1 src1_sel:DWORD
	v_sub_u16_e32 v62, v0, v1
	v_cmp_gt_u16_e64 s[0:1], 60, v62
	v_lshlrev_b32_e32 v61, 3, v62
	s_and_saveexec_b64 s[6:7], s[0:1]
	s_cbranch_execz .LBB0_3
; %bb.2:
	s_load_dwordx2 s[12:13], s[4:5], 0x18
	s_waitcnt lgkmcnt(0)
	s_load_dwordx4 s[12:15], s[12:13], 0x0
	s_waitcnt lgkmcnt(0)
	v_mad_u64_u32 v[0:1], s[16:17], s14, v56, 0
	v_mad_u64_u32 v[2:3], s[16:17], s12, v62, 0
	;; [unrolled: 1-line block ×4, first 2 shown]
	v_mov_b32_e32 v1, v4
	v_lshlrev_b64 v[0:1], 3, v[0:1]
	v_mov_b32_e32 v3, v5
	v_mov_b32_e32 v6, s3
	v_lshlrev_b64 v[2:3], 3, v[2:3]
	v_add_co_u32_e32 v0, vcc, s2, v0
	v_addc_co_u32_e32 v1, vcc, v6, v1, vcc
	v_add_co_u32_e32 v0, vcc, v0, v2
	s_mul_i32 s3, s13, 0x1e0
	s_mul_hi_u32 s13, s12, 0x1e0
	v_addc_co_u32_e32 v1, vcc, v1, v3, vcc
	s_mul_i32 s2, s12, 0x1e0
	s_add_i32 s3, s13, s3
	v_mov_b32_e32 v3, s3
	v_add_co_u32_e32 v2, vcc, s2, v0
	v_addc_co_u32_e32 v3, vcc, v1, v3, vcc
	v_mov_b32_e32 v21, s3
	v_add_co_u32_e32 v20, vcc, s2, v2
	v_addc_co_u32_e32 v21, vcc, v3, v21, vcc
	;; [unrolled: 3-line block ×4, first 2 shown]
	global_load_dwordx2 v[4:5], v61, s[10:11]
	global_load_dwordx2 v[6:7], v61, s[10:11] offset:480
	global_load_dwordx2 v[8:9], v61, s[10:11] offset:960
	;; [unrolled: 1-line block ×7, first 2 shown]
	v_mov_b32_e32 v36, s3
	global_load_dwordx2 v[26:27], v[0:1], off
	global_load_dwordx2 v[28:29], v[2:3], off
	;; [unrolled: 1-line block ×5, first 2 shown]
	v_add_co_u32_e32 v0, vcc, s2, v24
	v_addc_co_u32_e32 v1, vcc, v25, v36, vcc
	v_mov_b32_e32 v37, s3
	v_add_co_u32_e32 v2, vcc, s2, v0
	v_addc_co_u32_e32 v3, vcc, v1, v37, vcc
	v_mov_b32_e32 v38, s3
	global_load_dwordx2 v[20:21], v[0:1], off
	global_load_dwordx2 v[22:23], v[2:3], off
	v_add_co_u32_e32 v0, vcc, s2, v2
	v_addc_co_u32_e32 v1, vcc, v3, v38, vcc
	v_mov_b32_e32 v39, s3
	v_add_co_u32_e32 v2, vcc, s2, v0
	v_addc_co_u32_e32 v3, vcc, v1, v39, vcc
	global_load_dwordx2 v[24:25], v[0:1], off
	global_load_dwordx2 v[36:37], v61, s[10:11] offset:3840
	global_load_dwordx2 v[38:39], v[2:3], off
	v_mov_b32_e32 v0, s11
	v_add_co_u32_e32 v40, vcc, s10, v61
	v_addc_co_u32_e32 v41, vcc, 0, v0, vcc
	v_mov_b32_e32 v1, s3
	v_add_co_u32_e32 v0, vcc, s2, v2
	v_addc_co_u32_e32 v1, vcc, v3, v1, vcc
	s_movk_i32 s12, 0x1000
	v_add_co_u32_e32 v40, vcc, s12, v40
	v_addc_co_u32_e32 v41, vcc, 0, v41, vcc
	global_load_dwordx2 v[2:3], v[0:1], off
	v_mov_b32_e32 v44, s3
	v_add_co_u32_e32 v0, vcc, s2, v0
	v_addc_co_u32_e32 v1, vcc, v1, v44, vcc
	global_load_dwordx2 v[44:45], v[0:1], off
	v_mov_b32_e32 v46, s3
	;; [unrolled: 4-line block ×3, first 2 shown]
	v_add_co_u32_e32 v0, vcc, s2, v0
	global_load_dwordx2 v[42:43], v[40:41], off offset:224
	v_addc_co_u32_e32 v1, vcc, v1, v48, vcc
	global_load_dwordx2 v[48:49], v[40:41], off offset:704
	global_load_dwordx2 v[50:51], v[0:1], off
	global_load_dwordx2 v[52:53], v[40:41], off offset:1184
	global_load_dwordx2 v[54:55], v[40:41], off offset:1664
	v_mov_b32_e32 v57, s3
	v_add_co_u32_e32 v0, vcc, s2, v0
	v_addc_co_u32_e32 v1, vcc, v1, v57, vcc
	global_load_dwordx2 v[57:58], v[0:1], off
	global_load_dwordx2 v[59:60], v[40:41], off offset:2144
	v_mov_b32_e32 v63, s3
	v_add_co_u32_e32 v0, vcc, s2, v0
	v_addc_co_u32_e32 v1, vcc, v1, v63, vcc
	global_load_dwordx2 v[63:64], v[0:1], off
	v_mov_b32_e32 v67, s3
	v_add_co_u32_e32 v0, vcc, s2, v0
	v_addc_co_u32_e32 v1, vcc, v1, v67, vcc
	global_load_dwordx2 v[65:66], v[40:41], off offset:2624
	global_load_dwordx2 v[67:68], v[0:1], off
	global_load_dwordx2 v[69:70], v[40:41], off offset:3104
	s_waitcnt vmcnt(23)
	v_mul_f32_e32 v0, v26, v5
	v_fma_f32 v1, v27, v4, -v0
	v_mul_f32_e32 v0, v27, v5
	v_fmac_f32_e32 v0, v26, v4
	s_waitcnt vmcnt(22)
	v_mul_f32_e32 v4, v28, v7
	v_fma_f32 v5, v29, v6, -v4
	v_mul_f32_e32 v4, v29, v7
	v_fmac_f32_e32 v4, v28, v6
	ds_write2_b64 v61, v[0:1], v[4:5] offset1:60
	s_waitcnt vmcnt(21)
	v_mul_f32_e32 v0, v30, v9
	s_waitcnt vmcnt(20)
	v_mul_f32_e32 v4, v32, v11
	v_fma_f32 v1, v31, v8, -v0
	v_mul_f32_e32 v0, v31, v9
	v_fma_f32 v5, v33, v10, -v4
	v_mul_f32_e32 v4, v33, v11
	v_fmac_f32_e32 v0, v30, v8
	v_fmac_f32_e32 v4, v32, v10
	ds_write2_b64 v61, v[0:1], v[4:5] offset0:120 offset1:180
	s_waitcnt vmcnt(19)
	v_mul_f32_e32 v0, v35, v13
	v_mul_f32_e32 v1, v34, v13
	s_waitcnt vmcnt(18)
	v_mul_f32_e32 v4, v21, v15
	v_mul_f32_e32 v5, v20, v15
	v_fmac_f32_e32 v0, v34, v12
	v_fma_f32 v1, v35, v12, -v1
	v_fmac_f32_e32 v4, v20, v14
	v_fma_f32 v5, v21, v14, -v5
	v_add_u32_e32 v6, 0x400, v61
	ds_write2_b64 v6, v[0:1], v[4:5] offset0:112 offset1:172
	s_waitcnt vmcnt(17)
	v_mul_f32_e32 v0, v23, v17
	v_mul_f32_e32 v1, v22, v17
	s_waitcnt vmcnt(16)
	v_mul_f32_e32 v4, v25, v19
	v_mul_f32_e32 v5, v24, v19
	v_fmac_f32_e32 v0, v22, v16
	v_fma_f32 v1, v23, v16, -v1
	v_fmac_f32_e32 v4, v24, v18
	v_fma_f32 v5, v25, v18, -v5
	v_add_u32_e32 v6, 0x800, v61
	ds_write2_b64 v6, v[0:1], v[4:5] offset0:104 offset1:164
	s_waitcnt vmcnt(14)
	v_mul_f32_e32 v0, v39, v37
	v_mul_f32_e32 v1, v38, v37
	v_fmac_f32_e32 v0, v38, v36
	v_fma_f32 v1, v39, v36, -v1
	s_waitcnt vmcnt(10)
	v_mul_f32_e32 v4, v2, v43
	v_fma_f32 v4, v3, v42, -v4
	v_mul_f32_e32 v3, v3, v43
	v_fmac_f32_e32 v3, v2, v42
	v_add_u32_e32 v2, 0xc00, v61
	ds_write2_b64 v2, v[0:1], v[3:4] offset0:96 offset1:156
	s_waitcnt vmcnt(9)
	v_mul_f32_e32 v0, v45, v49
	v_mul_f32_e32 v1, v44, v49
	s_waitcnt vmcnt(7)
	v_mul_f32_e32 v2, v47, v53
	v_mul_f32_e32 v3, v46, v53
	v_fmac_f32_e32 v0, v44, v48
	v_fma_f32 v1, v45, v48, -v1
	v_fmac_f32_e32 v2, v46, v52
	v_fma_f32 v3, v47, v52, -v3
	v_add_u32_e32 v4, 0x1000, v61
	ds_write2_b64 v4, v[0:1], v[2:3] offset0:88 offset1:148
	s_waitcnt vmcnt(6)
	v_mul_f32_e32 v0, v51, v55
	v_mul_f32_e32 v1, v50, v55
	s_waitcnt vmcnt(4)
	v_mul_f32_e32 v2, v58, v60
	v_mul_f32_e32 v3, v57, v60
	v_fmac_f32_e32 v0, v50, v54
	v_fma_f32 v1, v51, v54, -v1
	v_fmac_f32_e32 v2, v57, v59
	v_fma_f32 v3, v58, v59, -v3
	v_add_u32_e32 v4, 0x1400, v61
	ds_write2_b64 v4, v[0:1], v[2:3] offset0:80 offset1:140
	s_waitcnt vmcnt(2)
	v_mul_f32_e32 v0, v64, v66
	v_mul_f32_e32 v1, v63, v66
	s_waitcnt vmcnt(0)
	v_mul_f32_e32 v2, v68, v70
	v_mul_f32_e32 v3, v67, v70
	v_fmac_f32_e32 v0, v63, v65
	v_fma_f32 v1, v64, v65, -v1
	v_fmac_f32_e32 v2, v67, v69
	v_fma_f32 v3, v68, v69, -v3
	v_add_u32_e32 v4, 0x1800, v61
	ds_write2_b64 v4, v[0:1], v[2:3] offset0:72 offset1:132
.LBB0_3:
	s_or_b64 exec, exec, s[6:7]
	s_waitcnt lgkmcnt(0)
	s_barrier
	s_waitcnt lgkmcnt(0)
                                        ; implicit-def: $vgpr22
                                        ; implicit-def: $vgpr30
                                        ; implicit-def: $vgpr18
                                        ; implicit-def: $vgpr26
                                        ; implicit-def: $vgpr6
                                        ; implicit-def: $vgpr10
                                        ; implicit-def: $vgpr2
                                        ; implicit-def: $vgpr14
	s_and_saveexec_b64 s[2:3], s[0:1]
	s_cbranch_execz .LBB0_5
; %bb.4:
	v_add_u32_e32 v4, 0x400, v61
	v_add_u32_e32 v16, 0xc00, v61
	;; [unrolled: 1-line block ×3, first 2 shown]
	ds_read2_b64 v[12:15], v61 offset1:60
	ds_read2_b64 v[0:3], v61 offset0:120 offset1:180
	ds_read2_b64 v[8:11], v4 offset0:112 offset1:172
	v_add_u32_e32 v4, 0x800, v61
	ds_read2_b64 v[24:27], v16 offset0:96 offset1:156
	v_add_u32_e32 v16, 0x1000, v61
	;; [unrolled: 2-line block ×3, first 2 shown]
	ds_read2_b64 v[4:7], v4 offset0:104 offset1:164
	ds_read2_b64 v[16:19], v16 offset0:88 offset1:148
	;; [unrolled: 1-line block ×3, first 2 shown]
.LBB0_5:
	s_or_b64 exec, exec, s[2:3]
	s_waitcnt lgkmcnt(4)
	v_sub_f32_e32 v24, v12, v24
	v_sub_f32_e32 v25, v13, v25
	s_waitcnt lgkmcnt(3)
	v_sub_f32_e32 v28, v8, v28
	v_sub_f32_e32 v29, v9, v29
	;; [unrolled: 3-line block ×4, first 2 shown]
	v_sub_f32_e32 v26, v14, v26
	v_sub_f32_e32 v27, v15, v27
	v_fma_f32 v12, v12, 2.0, -v24
	v_fma_f32 v13, v13, 2.0, -v25
	v_sub_f32_e32 v30, v10, v30
	v_sub_f32_e32 v31, v11, v31
	v_fma_f32 v8, v8, 2.0, -v28
	v_fma_f32 v9, v9, 2.0, -v29
	;; [unrolled: 4-line block ×4, first 2 shown]
	v_sub_f32_e32 v29, v24, v29
	v_add_f32_e32 v28, v28, v25
	v_fma_f32 v14, v14, 2.0, -v26
	v_fma_f32 v15, v15, 2.0, -v27
	v_fma_f32 v10, v10, 2.0, -v30
	v_fma_f32 v11, v11, 2.0, -v31
	v_fma_f32 v2, v2, 2.0, -v18
	v_fma_f32 v3, v3, 2.0, -v19
	v_fma_f32 v6, v6, 2.0, -v22
	v_fma_f32 v7, v7, 2.0, -v23
	v_sub_f32_e32 v8, v12, v8
	v_sub_f32_e32 v9, v13, v9
	v_fma_f32 v32, v24, 2.0, -v29
	v_fma_f32 v33, v25, 2.0, -v28
	v_sub_f32_e32 v4, v0, v4
	v_sub_f32_e32 v5, v1, v5
	;; [unrolled: 1-line block ×3, first 2 shown]
	v_add_f32_e32 v20, v20, v17
	v_fma_f32 v0, v0, 2.0, -v4
	v_fma_f32 v1, v1, 2.0, -v5
	;; [unrolled: 1-line block ×4, first 2 shown]
	v_sub_f32_e32 v10, v14, v10
	v_sub_f32_e32 v11, v15, v11
	;; [unrolled: 1-line block ×3, first 2 shown]
	v_add_f32_e32 v30, v30, v27
	v_sub_f32_e32 v6, v2, v6
	v_sub_f32_e32 v7, v3, v7
	v_mov_b32_e32 v34, v32
	v_mov_b32_e32 v35, v33
	v_sub_f32_e32 v5, v8, v5
	v_add_f32_e32 v4, v4, v9
	v_fma_f32 v12, v12, 2.0, -v8
	v_fma_f32 v13, v13, 2.0, -v9
	;; [unrolled: 1-line block ×6, first 2 shown]
	v_sub_f32_e32 v23, v18, v23
	v_add_f32_e32 v22, v22, v19
	v_fmac_f32_e32 v34, 0xbf3504f3, v16
	v_fmac_f32_e32 v35, 0xbf3504f3, v17
	v_mov_b32_e32 v48, v31
	v_mov_b32_e32 v49, v30
	v_fma_f32 v8, v8, 2.0, -v5
	v_fma_f32 v9, v9, 2.0, -v4
	v_sub_f32_e32 v7, v10, v7
	v_add_f32_e32 v6, v6, v11
	v_fma_f32 v14, v14, 2.0, -v10
	v_fma_f32 v15, v15, 2.0, -v11
	;; [unrolled: 1-line block ×4, first 2 shown]
	v_fmac_f32_e32 v34, 0xbf3504f3, v17
	v_fmac_f32_e32 v35, 0x3f3504f3, v16
	v_mov_b32_e32 v42, v26
	v_mov_b32_e32 v43, v27
	v_fmac_f32_e32 v48, 0x3f3504f3, v23
	v_fmac_f32_e32 v49, 0x3f3504f3, v22
	v_fma_f32 v10, v10, 2.0, -v7
	v_fma_f32 v11, v11, 2.0, -v6
	v_mov_b32_e32 v16, v8
	v_mov_b32_e32 v17, v9
	v_sub_f32_e32 v0, v12, v0
	v_sub_f32_e32 v1, v13, v1
	v_mov_b32_e32 v46, v29
	v_mov_b32_e32 v47, v28
	v_sub_f32_e32 v2, v14, v2
	v_sub_f32_e32 v3, v15, v3
	v_fmac_f32_e32 v42, 0xbf3504f3, v18
	v_fmac_f32_e32 v43, 0xbf3504f3, v19
	;; [unrolled: 1-line block ×6, first 2 shown]
	v_fma_f32 v12, v12, 2.0, -v0
	v_fma_f32 v13, v13, 2.0, -v1
	v_fmac_f32_e32 v46, 0x3f3504f3, v21
	v_fmac_f32_e32 v47, 0x3f3504f3, v20
	v_fma_f32 v14, v14, 2.0, -v2
	v_fma_f32 v15, v15, 2.0, -v3
	v_fmac_f32_e32 v42, 0xbf3504f3, v19
	v_fmac_f32_e32 v43, 0x3f3504f3, v18
	;; [unrolled: 1-line block ×4, first 2 shown]
	v_fma_f32 v10, v31, 2.0, -v48
	v_fma_f32 v11, v30, 2.0, -v49
	v_mov_b32_e32 v30, v34
	v_mov_b32_e32 v31, v35
	v_fmac_f32_e32 v46, 0xbf3504f3, v20
	v_fmac_f32_e32 v47, 0x3f3504f3, v21
	v_sub_f32_e32 v24, v12, v14
	v_sub_f32_e32 v25, v13, v15
	v_fmac_f32_e32 v30, 0x3ec3ef15, v42
	v_fmac_f32_e32 v31, 0x3ec3ef15, v43
	v_fma_f32 v20, v12, 2.0, -v24
	v_fma_f32 v21, v13, 2.0, -v25
	;; [unrolled: 1-line block ×8, first 2 shown]
	v_fmac_f32_e32 v30, 0xbf6c835e, v43
	v_fmac_f32_e32 v31, 0x3f6c835e, v42
	s_load_dwordx2 s[12:13], s[4:5], 0x8
	v_fma_f32 v14, v26, 2.0, -v42
	v_fma_f32 v15, v27, 2.0, -v43
	v_mov_b32_e32 v26, v12
	v_mov_b32_e32 v27, v13
	;; [unrolled: 1-line block ×4, first 2 shown]
	v_fma_f32 v42, v34, 2.0, -v30
	v_fma_f32 v43, v35, 2.0, -v31
	v_mov_b32_e32 v32, v5
	v_mov_b32_e32 v33, v4
	;; [unrolled: 1-line block ×4, first 2 shown]
	v_fmac_f32_e32 v26, 0xbf6c835e, v14
	v_fmac_f32_e32 v27, 0xbf6c835e, v15
	;; [unrolled: 1-line block ×12, first 2 shown]
	v_sub_f32_e32 v28, v0, v3
	v_add_f32_e32 v29, v2, v1
	v_fmac_f32_e32 v32, 0xbf3504f3, v6
	v_fmac_f32_e32 v33, 0x3f3504f3, v7
	;; [unrolled: 1-line block ×4, first 2 shown]
	v_fma_f32 v22, v12, 2.0, -v26
	v_fma_f32 v23, v13, 2.0, -v27
	;; [unrolled: 1-line block ×10, first 2 shown]
	v_lshlrev_b16_e32 v64, 4, v62
	s_waitcnt lgkmcnt(0)
	s_barrier
	s_and_saveexec_b64 s[2:3], s[0:1]
	s_cbranch_execz .LBB0_7
; %bb.6:
	v_lshlrev_b32_e32 v0, 3, v64
	ds_write_b128 v0, v[20:23]
	ds_write_b128 v0, v[36:39] offset:16
	ds_write_b128 v0, v[40:43] offset:32
	;; [unrolled: 1-line block ×7, first 2 shown]
.LBB0_7:
	s_or_b64 exec, exec, s[2:3]
	s_load_dwordx2 s[4:5], s[4:5], 0x20
	s_movk_i32 s2, 0x60
	v_cmp_gt_u16_e64 s[2:3], s2, v62
	s_waitcnt lgkmcnt(0)
	s_barrier
	s_and_saveexec_b64 s[6:7], s[2:3]
	s_cbranch_execz .LBB0_9
; %bb.8:
	v_add_u32_e32 v0, 0x400, v61
	ds_read2_b64 v[36:39], v0 offset0:64 offset1:160
	v_add_u32_e32 v0, 0x800, v61
	ds_read2_b64 v[40:43], v0 offset0:128 offset1:224
	;; [unrolled: 2-line block ×3, first 2 shown]
	v_add_u32_e32 v0, 0x1800, v61
	ds_read2_b64 v[20:23], v61 offset1:96
	ds_read2_b64 v[24:27], v0 offset1:96
.LBB0_9:
	s_or_b64 exec, exec, s[6:7]
	v_mov_b32_e32 v0, s12
	v_and_b32_e32 v63, 15, v62
	s_movk_i32 s6, 0x48
	v_mov_b32_e32 v1, s13
	v_mad_u64_u32 v[48:49], s[6:7], v63, s6, v[0:1]
	global_load_dwordx4 v[0:3], v[48:49], off
	global_load_dwordx4 v[4:7], v[48:49], off offset:16
	global_load_dwordx4 v[8:11], v[48:49], off offset:32
	;; [unrolled: 1-line block ×3, first 2 shown]
	global_load_dwordx2 v[57:58], v[48:49], off offset:64
	s_mov_b32 s6, 0x3f737871
	s_mov_b32 s7, 0xbf737871
	s_waitcnt vmcnt(0) lgkmcnt(0)
	s_barrier
	v_mul_f32_e32 v54, v37, v3
	v_mul_f32_e32 v59, v39, v5
	;; [unrolled: 1-line block ×11, first 2 shown]
	v_fma_f32 v55, v36, v2, -v54
	v_fma_f32 v54, v38, v4, -v59
	;; [unrolled: 1-line block ×3, first 2 shown]
	v_fmac_f32_e32 v51, v41, v6
	v_fma_f32 v59, v42, v8, -v68
	v_fma_f32 v68, v44, v10, -v69
	v_fmac_f32_e32 v53, v45, v10
	v_fma_f32 v45, v24, v14, -v71
	v_mul_f32_e32 v50, v42, v9
	v_mul_f32_e32 v52, v46, v13
	v_mul_f32_e32 v66, v26, v58
	v_fma_f32 v44, v46, v12, -v70
	v_fmac_f32_e32 v60, v25, v14
	v_fma_f32 v24, v26, v57, -v72
	v_sub_f32_e32 v25, v55, v67
	v_sub_f32_e32 v26, v45, v68
	v_add_f32_e32 v42, v55, v45
	v_add_f32_e32 v46, v51, v53
	v_mul_f32_e32 v49, v36, v3
	v_fmac_f32_e32 v52, v47, v12
	v_add_f32_e32 v74, v25, v26
	v_fma_f32 v26, -0.5, v42, v20
	v_fma_f32 v47, -0.5, v46, v21
	v_fmac_f32_e32 v49, v37, v2
	v_sub_f32_e32 v65, v51, v53
	v_sub_f32_e32 v72, v55, v45
	v_mov_b32_e32 v46, v26
	v_mov_b32_e32 v70, v47
	v_mul_f32_e32 v48, v38, v5
	v_fmac_f32_e32 v50, v43, v8
	v_fmac_f32_e32 v66, v27, v57
	v_sub_f32_e32 v27, v67, v55
	v_sub_f32_e32 v36, v68, v45
	;; [unrolled: 1-line block ×5, first 2 shown]
	v_add_f32_e32 v69, v49, v60
	v_sub_f32_e32 v73, v67, v68
	v_fmac_f32_e32 v26, 0x3f737871, v65
	v_fmac_f32_e32 v47, 0x3f737871, v72
	;; [unrolled: 1-line block ×4, first 2 shown]
	v_add_f32_e32 v36, v27, v36
	v_add_f32_e32 v37, v37, v38
	v_fma_f32 v69, -0.5, v69, v21
	v_fmac_f32_e32 v26, 0xbf167918, v43
	v_fmac_f32_e32 v47, 0x3f167918, v73
	v_fmac_f32_e32 v46, 0x3f167918, v43
	v_fmac_f32_e32 v70, 0xbf167918, v73
	v_mov_b32_e32 v71, v69
	v_fmac_f32_e32 v26, 0x3e9e377a, v36
	v_fmac_f32_e32 v47, 0x3e9e377a, v37
	;; [unrolled: 1-line block ×4, first 2 shown]
	v_sub_f32_e32 v36, v54, v59
	v_sub_f32_e32 v37, v24, v44
	v_fmac_f32_e32 v69, 0xbf737871, v73
	v_fmac_f32_e32 v71, 0x3f737871, v73
	v_add_f32_e32 v36, v36, v37
	v_mul_f32_e32 v37, v23, v1
	v_fmac_f32_e32 v48, v39, v4
	v_sub_f32_e32 v39, v51, v49
	v_sub_f32_e32 v40, v53, v60
	v_fmac_f32_e32 v69, 0x3f167918, v72
	v_fmac_f32_e32 v71, 0xbf167918, v72
	v_fma_f32 v72, v22, v0, -v37
	v_add_f32_e32 v37, v59, v44
	v_add_f32_e32 v38, v39, v40
	v_fma_f32 v37, -0.5, v37, v72
	v_fmac_f32_e32 v71, 0x3e9e377a, v38
	v_fmac_f32_e32 v69, 0x3e9e377a, v38
	v_sub_f32_e32 v38, v48, v66
	v_mov_b32_e32 v39, v37
	v_fmac_f32_e32 v39, 0x3f737871, v38
	v_sub_f32_e32 v40, v50, v52
	v_fmac_f32_e32 v37, 0xbf737871, v38
	v_add_f32_e32 v41, v67, v68
	v_fmac_f32_e32 v39, 0x3f167918, v40
	v_fmac_f32_e32 v37, 0xbf167918, v40
	v_fma_f32 v25, -0.5, v41, v20
	v_fmac_f32_e32 v39, 0x3e9e377a, v36
	v_fmac_f32_e32 v37, 0x3e9e377a, v36
	v_sub_f32_e32 v36, v59, v54
	v_sub_f32_e32 v41, v44, v24
	v_add_f32_e32 v36, v36, v41
	v_add_f32_e32 v41, v54, v24
	v_fma_f32 v41, -0.5, v41, v72
	v_mov_b32_e32 v42, v41
	v_fmac_f32_e32 v42, 0xbf737871, v40
	v_fmac_f32_e32 v41, 0x3f737871, v40
	;; [unrolled: 1-line block ×4, first 2 shown]
	v_mul_f32_e32 v22, v22, v1
	v_fmac_f32_e32 v42, 0x3e9e377a, v36
	v_fmac_f32_e32 v41, 0x3e9e377a, v36
	v_sub_f32_e32 v36, v48, v50
	v_sub_f32_e32 v38, v66, v52
	v_fmac_f32_e32 v22, v23, v0
	v_add_f32_e32 v23, v50, v52
	v_add_f32_e32 v36, v36, v38
	v_fma_f32 v38, -0.5, v23, v22
	v_mov_b32_e32 v27, v25
	v_sub_f32_e32 v23, v54, v24
	v_mov_b32_e32 v40, v38
	v_fmac_f32_e32 v25, 0xbf737871, v43
	v_fmac_f32_e32 v27, 0x3f737871, v43
	;; [unrolled: 1-line block ×3, first 2 shown]
	v_sub_f32_e32 v43, v59, v44
	v_fmac_f32_e32 v38, 0x3f737871, v23
	v_fmac_f32_e32 v40, 0xbf167918, v43
	;; [unrolled: 1-line block ×7, first 2 shown]
	v_sub_f32_e32 v36, v50, v48
	v_sub_f32_e32 v65, v52, v66
	v_add_f32_e32 v36, v36, v65
	v_add_f32_e32 v65, v48, v66
	v_fma_f32 v65, -0.5, v65, v22
	v_mov_b32_e32 v76, v65
	v_fmac_f32_e32 v76, 0x3f737871, v43
	v_fmac_f32_e32 v65, 0xbf737871, v43
	;; [unrolled: 1-line block ×6, first 2 shown]
	v_mul_f32_e32 v75, 0xbf737871, v42
	v_mul_f32_e32 v36, 0x3e9e377a, v41
	;; [unrolled: 1-line block ×3, first 2 shown]
	v_fmac_f32_e32 v75, 0x3e9e377a, v76
	v_fma_f32 v76, v65, s6, -v36
	v_mul_f32_e32 v36, 0x3e9e377a, v65
	v_fma_f32 v78, v41, s7, -v36
	s_mov_b32 s6, 0x3f167918
	v_mul_f32_e32 v36, 0x3f4f1bbd, v37
	v_fmac_f32_e32 v25, 0x3e9e377a, v74
	v_fmac_f32_e32 v27, 0x3e9e377a, v74
	v_mul_f32_e32 v23, 0x3f167918, v40
	v_mul_f32_e32 v74, 0xbf167918, v39
	s_mov_b32 s7, 0xbf167918
	v_fma_f32 v77, v38, s6, -v36
	v_mul_f32_e32 v36, 0x3f4f1bbd, v38
	v_fmac_f32_e32 v23, 0x3f4f1bbd, v39
	v_fmac_f32_e32 v74, 0x3f4f1bbd, v40
	;; [unrolled: 1-line block ×3, first 2 shown]
	v_fma_f32 v79, v37, s7, -v36
	v_sub_f32_e32 v36, v27, v23
	v_sub_f32_e32 v38, v46, v73
	v_sub_f32_e32 v40, v26, v76
	v_sub_f32_e32 v42, v25, v77
	v_sub_f32_e32 v37, v70, v74
	v_sub_f32_e32 v39, v71, v75
	v_sub_f32_e32 v41, v69, v78
	v_sub_f32_e32 v43, v47, v79
	v_lshrrev_b32_e32 v65, 4, v62
	s_and_saveexec_b64 s[6:7], s[2:3]
	s_cbranch_execz .LBB0_11
; %bb.10:
	v_add_f32_e32 v21, v21, v49
	v_add_f32_e32 v21, v21, v51
	;; [unrolled: 1-line block ×14, first 2 shown]
	v_sub_f32_e32 v21, v49, v22
	v_add_f32_e32 v20, v20, v44
	v_add_f32_e32 v52, v49, v22
	v_mul_u32_u24_e32 v22, 0xa0, v65
	v_add_f32_e32 v53, v20, v24
	v_or_b32_e32 v22, v22, v63
	v_sub_f32_e32 v20, v51, v53
	v_add_f32_e32 v24, v70, v74
	v_add_f32_e32 v23, v27, v23
	v_add_f32_e32 v51, v51, v53
	v_lshlrev_b32_e32 v22, 3, v22
	v_add_f32_e32 v45, v47, v79
	v_add_f32_e32 v48, v69, v78
	;; [unrolled: 1-line block ×6, first 2 shown]
	ds_write2_b64 v22, v[51:52], v[23:24] offset1:16
	ds_write2_b64 v22, v[49:50], v[47:48] offset0:32 offset1:48
	ds_write2_b64 v22, v[44:45], v[20:21] offset0:64 offset1:80
	;; [unrolled: 1-line block ×4, first 2 shown]
.LBB0_11:
	s_or_b64 exec, exec, s[6:7]
	v_mad_u64_u32 v[44:45], s[12:13], v62, 40, s[12:13]
	s_load_dwordx4 s[4:7], s[4:5], 0x0
	s_waitcnt lgkmcnt(0)
	s_barrier
	global_load_dwordx4 v[24:27], v[44:45], off offset:1152
	global_load_dwordx4 v[20:23], v[44:45], off offset:1168
	global_load_dwordx2 v[59:60], v[44:45], off offset:1184
	v_add_u32_e32 v67, 0x800, v61
	v_add_u32_e32 v66, 0x1400, v61
	ds_read2_b64 v[44:47], v61 offset1:160
	ds_read2_b64 v[48:51], v67 offset0:64 offset1:224
	ds_read2_b64 v[52:55], v66 offset1:160
	s_waitcnt vmcnt(2) lgkmcnt(2)
	v_mul_f32_e32 v69, v46, v25
	s_waitcnt lgkmcnt(1)
	v_mul_f32_e32 v70, v49, v27
	v_mul_f32_e32 v71, v48, v27
	s_waitcnt vmcnt(1)
	v_mul_f32_e32 v72, v51, v21
	v_mul_f32_e32 v73, v50, v21
	s_waitcnt lgkmcnt(0)
	v_mul_f32_e32 v75, v52, v23
	s_waitcnt vmcnt(0)
	v_mul_f32_e32 v76, v55, v60
	v_mul_f32_e32 v77, v54, v60
	;; [unrolled: 1-line block ×4, first 2 shown]
	v_fmac_f32_e32 v69, v47, v24
	v_fma_f32 v47, v48, v26, -v70
	v_fmac_f32_e32 v71, v49, v26
	v_fma_f32 v48, v50, v20, -v72
	v_fmac_f32_e32 v73, v51, v20
	v_fmac_f32_e32 v75, v53, v22
	v_fma_f32 v50, v54, v59, -v76
	v_fmac_f32_e32 v77, v55, v59
	v_fma_f32 v46, v46, v24, -v68
	v_fma_f32 v49, v52, v22, -v74
	v_sub_f32_e32 v53, v71, v75
	v_add_f32_e32 v54, v45, v71
	v_add_f32_e32 v55, v71, v75
	;; [unrolled: 1-line block ×3, first 2 shown]
	v_sub_f32_e32 v71, v73, v77
	v_add_f32_e32 v72, v69, v73
	v_add_f32_e32 v73, v73, v77
	;; [unrolled: 1-line block ×5, first 2 shown]
	v_fma_f32 v55, -0.5, v55, v45
	v_fmac_f32_e32 v46, -0.5, v70
	v_fmac_f32_e32 v69, -0.5, v73
	v_sub_f32_e32 v47, v47, v49
	v_sub_f32_e32 v48, v48, v50
	v_add_f32_e32 v49, v51, v49
	v_fma_f32 v52, -0.5, v52, v44
	v_add_f32_e32 v51, v54, v75
	v_add_f32_e32 v54, v72, v77
	v_mov_b32_e32 v70, v55
	v_mov_b32_e32 v72, v46
	v_fmac_f32_e32 v46, 0xbf5db3d7, v71
	v_mov_b32_e32 v73, v69
	v_add_f32_e32 v50, v68, v50
	v_mov_b32_e32 v68, v52
	v_fmac_f32_e32 v55, 0x3f5db3d7, v47
	v_fmac_f32_e32 v69, 0x3f5db3d7, v48
	;; [unrolled: 1-line block ×5, first 2 shown]
	v_mul_f32_e32 v47, -0.5, v46
	v_fmac_f32_e32 v52, 0xbf5db3d7, v53
	v_fmac_f32_e32 v68, 0x3f5db3d7, v53
	v_mul_f32_e32 v53, -0.5, v69
	v_mul_f32_e32 v71, 0x3f5db3d7, v73
	v_fmac_f32_e32 v47, 0x3f5db3d7, v69
	v_mul_f32_e32 v69, 0xbf5db3d7, v72
	v_fmac_f32_e32 v53, 0xbf5db3d7, v46
	v_fmac_f32_e32 v71, 0.5, v72
	v_fmac_f32_e32 v69, 0.5, v73
	v_add_f32_e32 v44, v49, v50
	v_add_f32_e32 v45, v51, v54
	v_sub_f32_e32 v50, v49, v50
	v_sub_f32_e32 v51, v51, v54
	v_add_f32_e32 v48, v52, v47
	v_add_f32_e32 v49, v55, v53
	v_sub_f32_e32 v54, v52, v47
	v_sub_f32_e32 v55, v55, v53
	;; [unrolled: 4-line block ×3, first 2 shown]
	ds_write2_b64 v67, v[48:49], v[50:51] offset0:64 offset1:224
	ds_write2_b64 v61, v[44:45], v[46:47] offset1:160
	ds_write2_b64 v66, v[52:53], v[54:55] offset1:160
	s_waitcnt lgkmcnt(0)
	s_barrier
	s_and_saveexec_b64 s[12:13], s[0:1]
	s_cbranch_execz .LBB0_13
; %bb.12:
	v_add_co_u32_e32 v78, vcc, s10, v61
	v_mov_b32_e32 v68, s11
	v_addc_co_u32_e32 v79, vcc, 0, v68, vcc
	v_add_co_u32_e32 v72, vcc, 0x1e00, v78
	v_addc_co_u32_e32 v73, vcc, 0, v79, vcc
	v_add_co_u32_e32 v74, vcc, 0x1000, v78
	v_addc_co_u32_e32 v75, vcc, 0, v79, vcc
	global_load_dwordx2 v[74:75], v[74:75], off offset:3584
	ds_read2_b64 v[68:71], v61 offset1:60
	v_add_u32_e32 v80, 0x400, v61
	s_movk_i32 s14, 0x2000
	s_waitcnt vmcnt(0) lgkmcnt(0)
	v_mul_f32_e32 v76, v69, v75
	v_mul_f32_e32 v77, v68, v75
	v_fma_f32 v76, v68, v74, -v76
	v_fmac_f32_e32 v77, v69, v74
	global_load_dwordx2 v[68:69], v[72:73], off offset:480
	s_waitcnt vmcnt(0)
	v_mul_f32_e32 v74, v71, v69
	v_mul_f32_e32 v75, v70, v69
	v_fma_f32 v74, v70, v68, -v74
	v_fmac_f32_e32 v75, v71, v68
	ds_write2_b64 v61, v[76:77], v[74:75] offset1:60
	global_load_dwordx2 v[74:75], v[72:73], off offset:960
	ds_read2_b64 v[68:71], v61 offset0:120 offset1:180
	s_waitcnt vmcnt(0) lgkmcnt(0)
	v_mul_f32_e32 v76, v69, v75
	v_mul_f32_e32 v77, v68, v75
	v_fma_f32 v76, v68, v74, -v76
	v_fmac_f32_e32 v77, v69, v74
	global_load_dwordx2 v[68:69], v[72:73], off offset:1440
	s_waitcnt vmcnt(0)
	v_mul_f32_e32 v74, v71, v69
	v_mul_f32_e32 v75, v70, v69
	v_fma_f32 v74, v70, v68, -v74
	v_fmac_f32_e32 v75, v71, v68
	ds_write2_b64 v61, v[76:77], v[74:75] offset0:120 offset1:180
	global_load_dwordx2 v[74:75], v[72:73], off offset:1920
	ds_read2_b64 v[68:71], v80 offset0:112 offset1:172
	s_waitcnt vmcnt(0) lgkmcnt(0)
	v_mul_f32_e32 v76, v69, v75
	v_mul_f32_e32 v77, v68, v75
	v_fma_f32 v76, v68, v74, -v76
	v_fmac_f32_e32 v77, v69, v74
	global_load_dwordx2 v[68:69], v[72:73], off offset:2400
	s_waitcnt vmcnt(0)
	v_mul_f32_e32 v74, v71, v69
	v_mul_f32_e32 v75, v70, v69
	v_fma_f32 v74, v70, v68, -v74
	v_fmac_f32_e32 v75, v71, v68
	ds_write2_b64 v80, v[76:77], v[74:75] offset0:112 offset1:172
	global_load_dwordx2 v[74:75], v[72:73], off offset:2880
	ds_read2_b64 v[68:71], v67 offset0:104 offset1:164
	s_waitcnt vmcnt(0) lgkmcnt(0)
	v_mul_f32_e32 v76, v69, v75
	v_mul_f32_e32 v77, v68, v75
	v_fma_f32 v76, v68, v74, -v76
	v_fmac_f32_e32 v77, v69, v74
	global_load_dwordx2 v[68:69], v[72:73], off offset:3360
	s_waitcnt vmcnt(0)
	v_mul_f32_e32 v75, v70, v69
	v_mul_f32_e32 v74, v71, v69
	v_fmac_f32_e32 v75, v71, v68
	global_load_dwordx2 v[71:72], v[72:73], off offset:3840
	v_fma_f32 v74, v70, v68, -v74
	ds_write2_b64 v67, v[76:77], v[74:75] offset0:104 offset1:164
	v_add_u32_e32 v75, 0xc00, v61
	ds_read2_b64 v[67:70], v75 offset0:96 offset1:156
	v_add_u32_e32 v77, 0x1000, v61
	s_waitcnt vmcnt(0) lgkmcnt(0)
	v_mul_f32_e32 v73, v68, v72
	v_fma_f32 v73, v67, v71, -v73
	v_mul_f32_e32 v74, v67, v72
	v_add_co_u32_e32 v67, vcc, s14, v78
	v_fmac_f32_e32 v74, v68, v71
	v_addc_co_u32_e32 v68, vcc, 0, v79, vcc
	global_load_dwordx2 v[67:68], v[67:68], off offset:3808
	s_movk_i32 s14, 0x3000
	s_waitcnt vmcnt(0)
	v_mul_f32_e32 v71, v70, v68
	v_mul_f32_e32 v72, v69, v68
	v_fma_f32 v71, v69, v67, -v71
	v_fmac_f32_e32 v72, v70, v67
	ds_write2_b64 v75, v[73:74], v[71:72] offset0:96 offset1:156
	v_add_co_u32_e32 v71, vcc, s14, v78
	v_addc_co_u32_e32 v72, vcc, 0, v79, vcc
	global_load_dwordx2 v[73:74], v[71:72], off offset:192
	ds_read2_b64 v[67:70], v77 offset0:88 offset1:148
	s_waitcnt vmcnt(0) lgkmcnt(0)
	v_mul_f32_e32 v75, v68, v74
	v_mul_f32_e32 v76, v67, v74
	v_fma_f32 v75, v67, v73, -v75
	v_fmac_f32_e32 v76, v68, v73
	global_load_dwordx2 v[67:68], v[71:72], off offset:672
	s_waitcnt vmcnt(0)
	v_mul_f32_e32 v73, v70, v68
	v_mul_f32_e32 v74, v69, v68
	v_fma_f32 v73, v69, v67, -v73
	v_fmac_f32_e32 v74, v70, v67
	ds_write2_b64 v77, v[75:76], v[73:74] offset0:88 offset1:148
	global_load_dwordx2 v[73:74], v[71:72], off offset:1152
	ds_read2_b64 v[67:70], v66 offset0:80 offset1:140
	v_add_u32_e32 v77, 0x1800, v61
	s_waitcnt vmcnt(0) lgkmcnt(0)
	v_mul_f32_e32 v75, v68, v74
	v_mul_f32_e32 v76, v67, v74
	v_fma_f32 v75, v67, v73, -v75
	v_fmac_f32_e32 v76, v68, v73
	global_load_dwordx2 v[67:68], v[71:72], off offset:1632
	s_waitcnt vmcnt(0)
	v_mul_f32_e32 v73, v70, v68
	v_mul_f32_e32 v74, v69, v68
	v_fma_f32 v73, v69, v67, -v73
	v_fmac_f32_e32 v74, v70, v67
	ds_write2_b64 v66, v[75:76], v[73:74] offset0:80 offset1:140
	global_load_dwordx2 v[73:74], v[71:72], off offset:2112
	ds_read2_b64 v[66:69], v77 offset0:72 offset1:132
	s_waitcnt vmcnt(0) lgkmcnt(0)
	v_mul_f32_e32 v70, v67, v74
	v_mul_f32_e32 v76, v66, v74
	v_fma_f32 v75, v66, v73, -v70
	v_fmac_f32_e32 v76, v67, v73
	global_load_dwordx2 v[66:67], v[71:72], off offset:2592
	s_waitcnt vmcnt(0)
	v_mul_f32_e32 v70, v69, v67
	v_mul_f32_e32 v71, v68, v67
	v_fma_f32 v70, v68, v66, -v70
	v_fmac_f32_e32 v71, v69, v66
	ds_write2_b64 v77, v[75:76], v[70:71] offset0:72 offset1:132
.LBB0_13:
	s_or_b64 exec, exec, s[12:13]
	s_waitcnt lgkmcnt(0)
	s_barrier
	s_and_saveexec_b64 s[12:13], s[0:1]
	s_cbranch_execz .LBB0_15
; %bb.14:
	v_add_u32_e32 v16, 0x400, v61
	ds_read2_b64 v[44:47], v61 offset1:60
	ds_read2_b64 v[48:51], v61 offset0:120 offset1:180
	ds_read2_b64 v[52:55], v16 offset0:112 offset1:172
	v_add_u32_e32 v16, 0x800, v61
	ds_read2_b64 v[36:39], v16 offset0:104 offset1:164
	v_add_u32_e32 v16, 0xc00, v61
	;; [unrolled: 2-line block ×3, first 2 shown]
	v_add_u32_e32 v28, 0x1400, v61
	v_add_u32_e32 v32, 0x1800, v61
	ds_read2_b64 v[16:19], v16 offset0:88 offset1:148
	ds_read2_b64 v[28:31], v28 offset0:80 offset1:140
	ds_read2_b64 v[32:35], v32 offset0:72 offset1:132
.LBB0_15:
	s_or_b64 exec, exec, s[12:13]
	s_waitcnt lgkmcnt(3)
	v_sub_f32_e32 v40, v44, v40
	v_sub_f32_e32 v41, v45, v41
	s_waitcnt lgkmcnt(1)
	v_sub_f32_e32 v28, v52, v28
	v_sub_f32_e32 v29, v53, v29
	v_fma_f32 v52, v52, 2.0, -v28
	v_fma_f32 v53, v53, 2.0, -v29
	v_sub_f32_e32 v16, v48, v16
	v_sub_f32_e32 v17, v49, v17
	s_waitcnt lgkmcnt(0)
	v_sub_f32_e32 v32, v36, v32
	v_sub_f32_e32 v33, v37, v33
	;; [unrolled: 1-line block ×10, first 2 shown]
	v_add_f32_e32 v29, v29, v40
	v_sub_f32_e32 v28, v41, v28
	v_fma_f32 v44, v44, 2.0, -v40
	v_fma_f32 v45, v45, 2.0, -v41
	;; [unrolled: 1-line block ×14, first 2 shown]
	v_add_f32_e32 v33, v33, v16
	v_sub_f32_e32 v32, v17, v32
	v_add_f32_e32 v31, v31, v42
	v_sub_f32_e32 v30, v43, v30
	v_mov_b32_e32 v72, v29
	v_mov_b32_e32 v73, v28
	v_sub_f32_e32 v52, v44, v52
	v_sub_f32_e32 v53, v45, v53
	v_fma_f32 v40, v40, 2.0, -v29
	v_fma_f32 v41, v41, 2.0, -v28
	v_sub_f32_e32 v36, v48, v36
	v_sub_f32_e32 v37, v49, v37
	;; [unrolled: 1-line block ×6, first 2 shown]
	v_add_f32_e32 v35, v35, v18
	v_sub_f32_e32 v34, v19, v34
	v_fmac_f32_e32 v72, 0x3f3504f3, v33
	v_fmac_f32_e32 v73, 0x3f3504f3, v32
	v_mov_b32_e32 v74, v31
	v_mov_b32_e32 v75, v30
	v_fma_f32 v44, v44, 2.0, -v52
	v_fma_f32 v45, v45, 2.0, -v53
	;; [unrolled: 1-line block ×10, first 2 shown]
	v_mov_b32_e32 v68, v40
	v_mov_b32_e32 v69, v41
	v_fmac_f32_e32 v72, 0x3f3504f3, v32
	v_fmac_f32_e32 v73, 0xbf3504f3, v33
	;; [unrolled: 1-line block ×4, first 2 shown]
	v_sub_f32_e32 v66, v44, v48
	v_sub_f32_e32 v67, v45, v49
	v_fmac_f32_e32 v68, 0xbf3504f3, v16
	v_fmac_f32_e32 v69, 0xbf3504f3, v17
	v_fma_f32 v48, v29, 2.0, -v72
	v_fma_f32 v49, v28, 2.0, -v73
	v_sub_f32_e32 v50, v46, v50
	v_sub_f32_e32 v51, v47, v51
	v_fmac_f32_e32 v74, 0x3f3504f3, v34
	v_fmac_f32_e32 v75, 0xbf3504f3, v35
	v_fma_f32 v42, v42, 2.0, -v31
	v_fma_f32 v43, v43, 2.0, -v30
	;; [unrolled: 1-line block ×4, first 2 shown]
	v_fmac_f32_e32 v68, 0x3f3504f3, v17
	v_fmac_f32_e32 v69, 0xbf3504f3, v16
	v_add_f32_e32 v70, v37, v52
	v_sub_f32_e32 v71, v53, v36
	v_fma_f32 v16, v46, 2.0, -v50
	v_fma_f32 v17, v47, 2.0, -v51
	v_fma_f32 v34, v31, 2.0, -v74
	v_fma_f32 v35, v30, 2.0, -v75
	v_mov_b32_e32 v46, v48
	v_mov_b32_e32 v47, v49
	v_fma_f32 v36, v52, 2.0, -v70
	v_fma_f32 v37, v53, 2.0, -v71
	v_mov_b32_e32 v52, v42
	v_mov_b32_e32 v53, v43
	v_fmac_f32_e32 v46, 0xbec3ef15, v34
	v_fmac_f32_e32 v47, 0xbec3ef15, v35
	;; [unrolled: 1-line block ×6, first 2 shown]
	v_fma_f32 v44, v44, 2.0, -v66
	v_fma_f32 v45, v45, 2.0, -v67
	v_fmac_f32_e32 v52, 0x3f3504f3, v19
	v_fmac_f32_e32 v53, 0xbf3504f3, v18
	v_fma_f32 v34, v48, 2.0, -v46
	v_fma_f32 v35, v49, 2.0, -v47
	v_add_f32_e32 v48, v51, v66
	v_sub_f32_e32 v49, v67, v50
	v_mov_b32_e32 v50, v68
	v_mov_b32_e32 v51, v69
	v_fma_f32 v40, v40, 2.0, -v68
	v_fma_f32 v41, v41, 2.0, -v69
	;; [unrolled: 1-line block ×4, first 2 shown]
	v_add_f32_e32 v42, v39, v54
	v_sub_f32_e32 v43, v55, v38
	v_sub_f32_e32 v28, v44, v16
	v_sub_f32_e32 v29, v45, v17
	v_fmac_f32_e32 v50, 0x3ec3ef15, v52
	v_fmac_f32_e32 v51, 0x3ec3ef15, v53
	v_fma_f32 v32, v54, 2.0, -v42
	v_fma_f32 v33, v55, 2.0, -v43
	;; [unrolled: 1-line block ×4, first 2 shown]
	v_mov_b32_e32 v30, v40
	v_mov_b32_e32 v31, v41
	;; [unrolled: 1-line block ×4, first 2 shown]
	v_fmac_f32_e32 v50, 0x3f6c835e, v53
	v_fmac_f32_e32 v51, 0xbf6c835e, v52
	v_mov_b32_e32 v52, v70
	v_mov_b32_e32 v53, v71
	;; [unrolled: 1-line block ×4, first 2 shown]
	v_fmac_f32_e32 v30, 0xbf6c835e, v18
	v_fmac_f32_e32 v31, 0xbf6c835e, v19
	;; [unrolled: 1-line block ×16, first 2 shown]
	v_fma_f32 v18, v40, 2.0, -v30
	v_fma_f32 v19, v41, 2.0, -v31
	;; [unrolled: 1-line block ×12, first 2 shown]
	s_barrier
	s_and_saveexec_b64 s[12:13], s[0:1]
	s_cbranch_execz .LBB0_17
; %bb.16:
	v_lshlrev_b32_e32 v64, 3, v64
	ds_write_b128 v64, v[16:19]
	ds_write_b128 v64, v[32:35] offset:16
	ds_write_b128 v64, v[36:39] offset:32
	;; [unrolled: 1-line block ×7, first 2 shown]
.LBB0_17:
	s_or_b64 exec, exec, s[12:13]
	s_waitcnt lgkmcnt(0)
	s_barrier
	s_and_saveexec_b64 s[12:13], s[2:3]
	s_cbranch_execz .LBB0_19
; %bb.18:
	v_add_u32_e32 v28, 0x400, v61
	ds_read2_b64 v[32:35], v28 offset0:64 offset1:160
	v_add_u32_e32 v28, 0x800, v61
	ds_read2_b64 v[36:39], v28 offset0:128 offset1:224
	;; [unrolled: 2-line block ×3, first 2 shown]
	v_add_u32_e32 v28, 0x1800, v61
	ds_read2_b64 v[16:19], v61 offset1:96
	ds_read2_b64 v[28:31], v28 offset1:96
.LBB0_19:
	s_or_b64 exec, exec, s[12:13]
	s_waitcnt lgkmcnt(0)
	s_barrier
	s_and_saveexec_b64 s[12:13], s[2:3]
	s_cbranch_execz .LBB0_21
; %bb.20:
	v_mul_f32_e32 v44, v3, v32
	v_mul_f32_e32 v47, v15, v28
	;; [unrolled: 1-line block ×3, first 2 shown]
	v_fma_f32 v44, v2, v33, -v44
	v_mul_f32_e32 v48, v11, v40
	v_mul_f32_e32 v33, v3, v33
	v_fmac_f32_e32 v15, v14, v28
	v_mul_f32_e32 v28, v7, v37
	v_mul_f32_e32 v11, v11, v41
	;; [unrolled: 1-line block ×3, first 2 shown]
	v_fma_f32 v47, v14, v29, -v47
	v_fma_f32 v48, v10, v41, -v48
	v_fmac_f32_e32 v33, v2, v32
	v_fmac_f32_e32 v28, v6, v36
	;; [unrolled: 1-line block ×3, first 2 shown]
	v_mul_f32_e32 v10, v5, v35
	v_mul_f32_e32 v29, v9, v39
	v_mul_f32_e32 v32, v58, v31
	v_mul_f32_e32 v36, v13, v43
	v_fmac_f32_e32 v10, v4, v34
	v_fmac_f32_e32 v29, v8, v38
	;; [unrolled: 1-line block ×4, first 2 shown]
	v_fma_f32 v45, v6, v37, -v45
	v_sub_f32_e32 v3, v10, v29
	v_sub_f32_e32 v7, v32, v36
	v_mul_f32_e32 v37, v1, v19
	v_add_f32_e32 v7, v7, v3
	v_fmac_f32_e32 v37, v0, v18
	v_add_f32_e32 v3, v36, v29
	v_fma_f32 v40, -0.5, v3, v37
	v_mul_f32_e32 v3, v5, v34
	v_fma_f32 v4, v4, v35, -v3
	v_mul_f32_e32 v3, v58, v30
	v_fma_f32 v30, v57, v31, -v3
	;; [unrolled: 2-line block ×4, first 2 shown]
	v_sub_f32_e32 v3, v4, v8
	v_sub_f32_e32 v5, v30, v9
	v_add_f32_e32 v13, v5, v3
	v_sub_f32_e32 v3, v45, v44
	v_sub_f32_e32 v5, v48, v47
	v_add_f32_e32 v5, v5, v3
	v_add_f32_e32 v3, v47, v44
	v_sub_f32_e32 v46, v44, v45
	v_sub_f32_e32 v49, v47, v48
	v_fma_f32 v41, -0.5, v3, v17
	v_sub_f32_e32 v3, v29, v10
	v_sub_f32_e32 v43, v36, v32
	v_add_f32_e32 v46, v49, v46
	v_add_f32_e32 v49, v48, v45
	;; [unrolled: 1-line block ×4, first 2 shown]
	v_fma_f32 v49, -0.5, v49, v17
	v_sub_f32_e32 v6, v28, v11
	v_mul_f32_e32 v1, v1, v18
	v_mov_b32_e32 v42, v41
	v_fma_f32 v50, -0.5, v3, v37
	v_sub_f32_e32 v3, v8, v4
	v_sub_f32_e32 v52, v9, v30
	;; [unrolled: 1-line block ×3, first 2 shown]
	v_mov_b32_e32 v14, v49
	v_fma_f32 v0, v0, v19, -v1
	v_add_f32_e32 v1, v9, v8
	v_fmac_f32_e32 v42, 0x3f737871, v6
	v_add_f32_e32 v52, v52, v3
	v_add_f32_e32 v3, v30, v4
	v_fmac_f32_e32 v41, 0xbf737871, v6
	v_fmac_f32_e32 v14, 0xbf737871, v2
	v_fma_f32 v18, -0.5, v1, v0
	v_fmac_f32_e32 v42, 0xbf167918, v2
	v_fma_f32 v53, -0.5, v3, v0
	v_fmac_f32_e32 v41, 0x3f167918, v2
	v_fmac_f32_e32 v49, 0x3f737871, v2
	v_add_f32_e32 v2, v44, v17
	v_add_f32_e32 v0, v4, v0
	v_sub_f32_e32 v19, v10, v32
	v_mov_b32_e32 v35, v18
	v_sub_f32_e32 v38, v29, v36
	v_mov_b32_e32 v54, v53
	v_add_f32_e32 v2, v45, v2
	v_add_f32_e32 v0, v8, v0
	v_sub_f32_e32 v31, v4, v30
	v_mov_b32_e32 v34, v40
	v_fmac_f32_e32 v35, 0xbf737871, v19
	v_fmac_f32_e32 v54, 0x3f737871, v38
	;; [unrolled: 1-line block ×3, first 2 shown]
	v_add_f32_e32 v2, v48, v2
	v_add_f32_e32 v0, v9, v0
	v_fmac_f32_e32 v34, 0x3f737871, v31
	v_sub_f32_e32 v12, v8, v9
	v_fmac_f32_e32 v35, 0xbf167918, v38
	v_fmac_f32_e32 v54, 0xbf167918, v19
	;; [unrolled: 1-line block ×4, first 2 shown]
	v_add_f32_e32 v19, v47, v2
	v_add_f32_e32 v30, v30, v0
	v_sub_f32_e32 v0, v33, v28
	v_sub_f32_e32 v2, v15, v11
	v_fmac_f32_e32 v14, 0xbf167918, v6
	v_fmac_f32_e32 v34, 0x3f167918, v12
	;; [unrolled: 1-line block ×4, first 2 shown]
	v_add_f32_e32 v6, v2, v0
	v_sub_f32_e32 v2, v28, v33
	v_sub_f32_e32 v4, v11, v15
	v_fmac_f32_e32 v34, 0x3e9e377a, v7
	v_mul_f32_e32 v39, 0xbf4f1bbd, v35
	v_mov_b32_e32 v51, v50
	v_mul_f32_e32 v35, 0xbf167918, v35
	v_add_f32_e32 v4, v4, v2
	v_add_f32_e32 v2, v15, v33
	v_fmac_f32_e32 v39, 0x3f167918, v34
	v_fmac_f32_e32 v51, 0xbf737871, v12
	;; [unrolled: 1-line block ×4, first 2 shown]
	v_add_f32_e32 v0, v11, v28
	v_fmac_f32_e32 v35, 0xbf4f1bbd, v34
	v_fma_f32 v34, -0.5, v2, v16
	v_fmac_f32_e32 v51, 0x3f167918, v31
	v_fmac_f32_e32 v50, 0xbf167918, v31
	;; [unrolled: 1-line block ×4, first 2 shown]
	v_fma_f32 v31, -0.5, v0, v16
	v_sub_f32_e32 v8, v44, v47
	v_sub_f32_e32 v13, v45, v48
	v_mov_b32_e32 v44, v34
	v_mov_b32_e32 v38, v31
	v_fmac_f32_e32 v44, 0xbf737871, v13
	v_fmac_f32_e32 v34, 0x3f737871, v13
	;; [unrolled: 1-line block ×6, first 2 shown]
	v_add_f32_e32 v8, v33, v16
	v_add_f32_e32 v8, v28, v8
	;; [unrolled: 1-line block ×5, first 2 shown]
	v_fmac_f32_e32 v40, 0xbf167918, v12
	v_add_f32_e32 v8, v29, v8
	v_fmac_f32_e32 v40, 0x3e9e377a, v7
	v_mul_f32_e32 v12, 0x3f4f1bbd, v18
	v_fmac_f32_e32 v31, 0xbf167918, v13
	v_mul_f32_e32 v18, 0xbf167918, v18
	v_add_f32_e32 v8, v36, v8
	v_fmac_f32_e32 v38, 0x3f167918, v13
	v_fmac_f32_e32 v31, 0x3e9e377a, v6
	;; [unrolled: 1-line block ×3, first 2 shown]
	v_add_f32_e32 v29, v32, v8
	v_fmac_f32_e32 v54, 0x3e9e377a, v52
	v_fmac_f32_e32 v53, 0x3e9e377a, v52
	;; [unrolled: 1-line block ×3, first 2 shown]
	v_sub_f32_e32 v6, v31, v18
	v_sub_f32_e32 v8, v28, v29
	v_add_f32_e32 v16, v31, v18
	v_add_f32_e32 v18, v28, v29
	v_mul_u32_u24_e32 v28, 0xa0, v65
	v_fmac_f32_e32 v14, 0x3e9e377a, v46
	v_fmac_f32_e32 v51, 0x3e9e377a, v43
	v_mul_f32_e32 v55, 0xbe9e377a, v54
	v_fmac_f32_e32 v50, 0x3e9e377a, v43
	v_mul_f32_e32 v43, 0x3e9e377a, v53
	v_fmac_f32_e32 v49, 0x3e9e377a, v46
	v_fmac_f32_e32 v12, 0x3f167918, v40
	v_mul_f32_e32 v45, 0xbf737871, v54
	v_mul_f32_e32 v46, 0xbf737871, v53
	v_or_b32_e32 v28, v28, v63
	v_fmac_f32_e32 v42, 0x3e9e377a, v5
	v_fmac_f32_e32 v55, 0x3f737871, v51
	;; [unrolled: 1-line block ×4, first 2 shown]
	v_sub_f32_e32 v9, v19, v30
	v_fmac_f32_e32 v44, 0x3e9e377a, v4
	v_fmac_f32_e32 v45, 0xbe9e377a, v51
	;; [unrolled: 1-line block ×4, first 2 shown]
	v_add_f32_e32 v17, v49, v12
	v_add_f32_e32 v19, v19, v30
	v_lshlrev_b32_e32 v28, 3, v28
	v_sub_f32_e32 v1, v14, v39
	v_sub_f32_e32 v3, v42, v55
	;; [unrolled: 1-line block ×7, first 2 shown]
	v_add_f32_e32 v11, v14, v39
	v_add_f32_e32 v13, v42, v55
	;; [unrolled: 1-line block ×6, first 2 shown]
	ds_write2_b64 v28, v[18:19], v[16:17] offset1:16
	ds_write2_b64 v28, v[14:15], v[12:13] offset0:32 offset1:48
	ds_write2_b64 v28, v[10:11], v[8:9] offset0:64 offset1:80
	ds_write2_b64 v28, v[6:7], v[4:5] offset0:96 offset1:112
	ds_write2_b64 v28, v[2:3], v[0:1] offset0:128 offset1:144
.LBB0_21:
	s_or_b64 exec, exec, s[12:13]
	s_waitcnt lgkmcnt(0)
	s_barrier
	ds_read2_b64 v[2:5], v61 offset1:160
	v_add_u32_e32 v1, 0x800, v61
	ds_read2_b64 v[6:9], v1 offset0:64 offset1:224
	v_add_u32_e32 v0, 0x1400, v61
	ds_read2_b64 v[10:13], v0 offset1:160
	s_waitcnt lgkmcnt(2)
	v_mul_f32_e32 v14, v25, v5
	v_fmac_f32_e32 v14, v24, v4
	v_mul_f32_e32 v4, v25, v4
	v_fma_f32 v15, v24, v5, -v4
	s_waitcnt lgkmcnt(1)
	v_mul_f32_e32 v4, v27, v7
	v_mul_f32_e32 v5, v27, v6
	v_fmac_f32_e32 v4, v26, v6
	v_fma_f32 v5, v26, v7, -v5
	v_mul_f32_e32 v6, v21, v9
	v_mul_f32_e32 v7, v21, v8
	v_fmac_f32_e32 v6, v20, v8
	v_fma_f32 v7, v20, v9, -v7
	s_waitcnt lgkmcnt(0)
	v_mul_f32_e32 v8, v23, v11
	v_mul_f32_e32 v9, v23, v10
	v_fmac_f32_e32 v8, v22, v10
	v_fma_f32 v9, v22, v11, -v9
	v_mul_f32_e32 v11, v60, v12
	v_mul_f32_e32 v10, v60, v13
	v_fma_f32 v11, v59, v13, -v11
	v_add_f32_e32 v13, v4, v8
	v_fma_f32 v13, -0.5, v13, v2
	v_fmac_f32_e32 v10, v59, v12
	v_add_f32_e32 v12, v2, v4
	v_sub_f32_e32 v2, v5, v9
	v_mov_b32_e32 v16, v13
	v_fmac_f32_e32 v16, 0xbf5db3d7, v2
	v_fmac_f32_e32 v13, 0x3f5db3d7, v2
	v_add_f32_e32 v2, v3, v5
	v_add_f32_e32 v17, v2, v9
	;; [unrolled: 1-line block ×3, first 2 shown]
	v_fma_f32 v18, -0.5, v2, v3
	v_sub_f32_e32 v2, v4, v8
	v_mov_b32_e32 v19, v18
	v_fmac_f32_e32 v19, 0x3f5db3d7, v2
	v_fmac_f32_e32 v18, 0xbf5db3d7, v2
	v_add_f32_e32 v2, v14, v6
	v_add_f32_e32 v12, v12, v8
	;; [unrolled: 1-line block ×4, first 2 shown]
	v_fmac_f32_e32 v14, -0.5, v2
	v_sub_f32_e32 v2, v7, v11
	v_mov_b32_e32 v5, v14
	v_fmac_f32_e32 v5, 0xbf5db3d7, v2
	v_fmac_f32_e32 v14, 0x3f5db3d7, v2
	v_add_f32_e32 v2, v15, v7
	v_add_f32_e32 v9, v2, v11
	;; [unrolled: 1-line block ×3, first 2 shown]
	v_fmac_f32_e32 v15, -0.5, v2
	v_sub_f32_e32 v2, v6, v10
	v_mov_b32_e32 v7, v15
	v_fmac_f32_e32 v7, 0x3f5db3d7, v2
	v_fmac_f32_e32 v15, 0xbf5db3d7, v2
	v_mul_f32_e32 v10, 0xbf5db3d7, v7
	v_mul_f32_e32 v20, 0.5, v7
	v_fmac_f32_e32 v10, 0.5, v5
	v_mul_f32_e32 v11, 0xbf5db3d7, v15
	v_fmac_f32_e32 v20, 0x3f5db3d7, v5
	v_mul_f32_e32 v15, -0.5, v15
	v_add_f32_e32 v2, v12, v8
	v_add_f32_e32 v4, v16, v10
	v_fmac_f32_e32 v11, -0.5, v14
	v_add_f32_e32 v3, v17, v9
	v_add_f32_e32 v5, v19, v20
	v_fmac_f32_e32 v15, 0x3f5db3d7, v14
	v_add_f32_e32 v6, v13, v11
	v_add_f32_e32 v7, v18, v15
	v_sub_f32_e32 v8, v12, v8
	v_sub_f32_e32 v10, v16, v10
	v_sub_f32_e32 v12, v13, v11
	v_sub_f32_e32 v9, v17, v9
	v_sub_f32_e32 v11, v19, v20
	v_sub_f32_e32 v13, v18, v15
	ds_write2_b64 v61, v[2:3], v[4:5] offset1:160
	ds_write2_b64 v1, v[6:7], v[8:9] offset0:64 offset1:224
	ds_write2_b64 v0, v[10:11], v[12:13] offset1:160
	s_waitcnt lgkmcnt(0)
	s_barrier
	s_and_b64 exec, exec, s[0:1]
	s_cbranch_execz .LBB0_23
; %bb.22:
	global_load_dwordx2 v[10:11], v61, s[10:11]
	global_load_dwordx2 v[12:13], v61, s[10:11] offset:480
	global_load_dwordx2 v[14:15], v61, s[10:11] offset:960
	;; [unrolled: 1-line block ×3, first 2 shown]
	ds_read_b64 v[20:21], v61
	ds_read2_b64 v[2:5], v61 offset0:60 offset1:120
	ds_read2_b64 v[6:9], v61 offset0:180 offset1:240
	global_load_dwordx2 v[24:25], v61, s[10:11] offset:1920
	global_load_dwordx2 v[26:27], v61, s[10:11] offset:2400
	v_mad_u64_u32 v[18:19], s[0:1], s6, v56, 0
	v_mad_u64_u32 v[22:23], s[2:3], s4, v62, 0
	v_mov_b32_e32 v36, s11
	s_mul_i32 s3, s5, 0x1e0
	s_mul_hi_u32 s6, s4, 0x1e0
	v_add_co_u32_e32 v40, vcc, s10, v61
	v_addc_co_u32_e32 v41, vcc, 0, v36, vcc
	s_add_i32 s3, s6, s3
	s_waitcnt lgkmcnt(2)
	v_mad_u64_u32 v[36:37], s[6:7], s7, v56, v[19:20]
	s_mul_i32 s2, s4, 0x1e0
	ds_read_b64 v[28:29], v61 offset:3840
	global_load_dwordx2 v[30:31], v61, s[10:11] offset:2880
	global_load_dwordx2 v[32:33], v61, s[10:11] offset:3360
	;; [unrolled: 1-line block ×3, first 2 shown]
	v_mov_b32_e32 v19, v36
	v_lshlrev_b64 v[18:19], 3, v[18:19]
	v_mov_b32_e32 v39, s9
	v_add_co_u32_e32 v18, vcc, s8, v18
	v_addc_co_u32_e32 v19, vcc, v39, v19, vcc
	v_mov_b32_e32 v42, s3
	s_mov_b32 s0, 0x11111111
	s_mov_b32 s1, 0x3f511111
	s_waitcnt vmcnt(7) lgkmcnt(2)
	v_mul_f32_e32 v39, v3, v13
	v_mul_f32_e32 v13, v2, v13
	s_waitcnt vmcnt(5) lgkmcnt(1)
	v_mul_f32_e32 v43, v7, v17
	v_mul_f32_e32 v17, v6, v17
	v_fmac_f32_e32 v39, v2, v12
	s_waitcnt vmcnt(4)
	v_mad_u64_u32 v[37:38], s[4:5], s5, v62, v[23:24]
	v_mov_b32_e32 v38, s3
	v_fmac_f32_e32 v43, v6, v16
	v_mov_b32_e32 v23, v37
	v_lshlrev_b64 v[22:23], 3, v[22:23]
	s_movk_i32 s4, 0x1000
	v_add_co_u32_e32 v18, vcc, v18, v22
	v_addc_co_u32_e32 v19, vcc, v19, v23, vcc
	v_add_co_u32_e32 v22, vcc, s2, v18
	v_addc_co_u32_e32 v23, vcc, v19, v38, vcc
	v_add_co_u32_e32 v36, vcc, s2, v22
	v_mul_f32_e32 v38, v21, v11
	v_mul_f32_e32 v11, v20, v11
	v_addc_co_u32_e32 v37, vcc, v23, v42, vcc
	v_mul_f32_e32 v42, v5, v15
	v_mul_f32_e32 v15, v4, v15
	v_fmac_f32_e32 v38, v20, v10
	v_fma_f32 v10, v10, v21, -v11
	v_fma_f32 v11, v12, v3, -v13
	v_fmac_f32_e32 v42, v4, v14
	v_fma_f32 v14, v14, v5, -v15
	v_cvt_f64_f32_e32 v[2:3], v38
	v_cvt_f64_f32_e32 v[4:5], v10
	v_fma_f32 v20, v16, v7, -v17
	v_cvt_f64_f32_e32 v[6:7], v39
	v_cvt_f64_f32_e32 v[10:11], v11
	;; [unrolled: 1-line block ×4, first 2 shown]
	v_mul_f64 v[2:3], v[2:3], s[0:1]
	v_mul_f64 v[4:5], v[4:5], s[0:1]
	;; [unrolled: 1-line block ×6, first 2 shown]
	v_cvt_f64_f32_e32 v[16:17], v43
	v_cvt_f64_f32_e32 v[20:21], v20
	v_cvt_f32_f64_e32 v2, v[2:3]
	v_cvt_f32_f64_e32 v3, v[4:5]
	;; [unrolled: 1-line block ×6, first 2 shown]
	global_store_dwordx2 v[18:19], v[2:3], off
	global_store_dwordx2 v[22:23], v[4:5], off
	;; [unrolled: 1-line block ×3, first 2 shown]
	v_add_co_u32_e32 v6, vcc, s4, v40
	v_mul_f32_e32 v2, v9, v25
	v_mul_f32_e32 v4, v8, v25
	v_addc_co_u32_e32 v7, vcc, 0, v41, vcc
	v_fmac_f32_e32 v2, v8, v24
	v_fma_f32 v4, v24, v9, -v4
	global_load_dwordx2 v[8:9], v[6:7], off offset:224
	v_mul_f64 v[16:17], v[16:17], s[0:1]
	v_mul_f64 v[20:21], v[20:21], s[0:1]
	v_cvt_f64_f32_e32 v[4:5], v4
	global_load_dwordx2 v[18:19], v[6:7], off offset:1184
	v_cvt_f64_f32_e32 v[2:3], v2
	v_mul_f64 v[14:15], v[4:5], s[0:1]
	v_cvt_f32_f64_e32 v10, v[16:17]
	v_cvt_f32_f64_e32 v11, v[20:21]
	v_mov_b32_e32 v17, s3
	v_add_co_u32_e32 v16, vcc, s2, v36
	v_addc_co_u32_e32 v17, vcc, v37, v17, vcc
	global_store_dwordx2 v[16:17], v[10:11], off
	v_cvt_f32_f64_e32 v11, v[14:15]
	global_load_dwordx2 v[14:15], v[6:7], off offset:704
	v_mul_f64 v[12:13], v[2:3], s[0:1]
	ds_read2_b64 v[1:4], v1 offset0:44 offset1:104
	v_add_co_u32_e32 v16, vcc, s2, v16
	s_waitcnt vmcnt(10) lgkmcnt(0)
	v_mul_f32_e32 v5, v2, v27
	v_fmac_f32_e32 v5, v1, v26
	v_mul_f32_e32 v1, v1, v27
	v_fma_f32 v1, v26, v2, -v1
	v_cvt_f64_f32_e32 v[1:2], v1
	v_cvt_f32_f64_e32 v10, v[12:13]
	v_cvt_f64_f32_e32 v[12:13], v5
	v_mov_b32_e32 v5, s3
	v_mul_f64 v[1:2], v[1:2], s[0:1]
	v_addc_co_u32_e32 v17, vcc, v17, v5, vcc
	v_mul_f64 v[12:13], v[12:13], s[0:1]
	global_store_dwordx2 v[16:17], v[10:11], off
	s_waitcnt vmcnt(10)
	v_mul_f32_e32 v5, v4, v31
	v_fmac_f32_e32 v5, v3, v30
	v_add_co_u32_e32 v16, vcc, s2, v16
	v_cvt_f32_f64_e32 v11, v[1:2]
	v_mul_f32_e32 v1, v3, v31
	v_fma_f32 v1, v30, v4, -v1
	v_cvt_f64_f32_e32 v[20:21], v1
	v_add_u32_e32 v1, 0xc00, v61
	v_cvt_f32_f64_e32 v10, v[12:13]
	v_cvt_f64_f32_e32 v[12:13], v5
	ds_read2_b64 v[1:4], v1 offset0:36 offset1:156
	v_mov_b32_e32 v5, s3
	v_addc_co_u32_e32 v17, vcc, v17, v5, vcc
	v_mul_f64 v[12:13], v[12:13], s[0:1]
	global_store_dwordx2 v[16:17], v[10:11], off
	v_mul_f64 v[10:11], v[20:21], s[0:1]
	s_waitcnt vmcnt(10) lgkmcnt(0)
	v_mul_f32_e32 v5, v2, v33
	v_fmac_f32_e32 v5, v1, v32
	v_mul_f32_e32 v1, v1, v33
	v_fma_f32 v1, v32, v2, -v1
	v_cvt_f64_f32_e32 v[20:21], v5
	v_cvt_f64_f32_e32 v[1:2], v1
	v_cvt_f32_f64_e32 v12, v[12:13]
	v_cvt_f32_f64_e32 v13, v[10:11]
	v_mul_f64 v[10:11], v[20:21], s[0:1]
	v_mul_f64 v[1:2], v[1:2], s[0:1]
	v_mov_b32_e32 v5, s3
	v_add_co_u32_e32 v16, vcc, s2, v16
	v_addc_co_u32_e32 v17, vcc, v17, v5, vcc
	s_waitcnt vmcnt(9)
	v_mul_f32_e32 v5, v29, v35
	v_fmac_f32_e32 v5, v28, v34
	global_store_dwordx2 v[16:17], v[12:13], off
	v_cvt_f64_f32_e32 v[12:13], v5
	v_cvt_f32_f64_e32 v10, v[10:11]
	v_cvt_f32_f64_e32 v11, v[1:2]
	v_mov_b32_e32 v5, s3
	v_mul_f64 v[1:2], v[12:13], s[0:1]
	v_mul_f32_e32 v12, v28, v35
	v_fma_f32 v12, v34, v29, -v12
	v_cvt_f64_f32_e32 v[12:13], v12
	v_add_co_u32_e32 v16, vcc, s2, v16
	v_addc_co_u32_e32 v17, vcc, v17, v5, vcc
	global_store_dwordx2 v[16:17], v[10:11], off
	v_mul_f64 v[10:11], v[12:13], s[0:1]
	v_cvt_f32_f64_e32 v12, v[1:2]
	s_waitcnt vmcnt(7)
	v_mul_f32_e32 v1, v4, v9
	v_fmac_f32_e32 v1, v3, v8
	v_mul_f32_e32 v3, v3, v9
	v_fma_f32 v3, v8, v4, -v3
	v_cvt_f64_f32_e32 v[1:2], v1
	v_cvt_f64_f32_e32 v[3:4], v3
	v_cvt_f32_f64_e32 v13, v[10:11]
	v_add_co_u32_e32 v16, vcc, s2, v16
	v_mul_f64 v[8:9], v[1:2], s[0:1]
	v_mul_f64 v[10:11], v[3:4], s[0:1]
	v_add_u32_e32 v1, 0x1000, v61
	ds_read2_b64 v[1:4], v1 offset0:88 offset1:148
	v_addc_co_u32_e32 v17, vcc, v17, v5, vcc
	global_store_dwordx2 v[16:17], v[12:13], off
	v_add_co_u32_e32 v12, vcc, s2, v16
	v_cvt_f32_f64_e32 v8, v[8:9]
	v_cvt_f32_f64_e32 v9, v[10:11]
	s_waitcnt vmcnt(5) lgkmcnt(0)
	v_mul_f32_e32 v10, v2, v15
	v_fmac_f32_e32 v10, v1, v14
	v_mul_f32_e32 v1, v1, v15
	v_fma_f32 v1, v14, v2, -v1
	v_cvt_f64_f32_e32 v[10:11], v10
	v_cvt_f64_f32_e32 v[1:2], v1
	v_addc_co_u32_e32 v13, vcc, v17, v5, vcc
	global_store_dwordx2 v[12:13], v[8:9], off
	v_mul_f64 v[8:9], v[10:11], s[0:1]
	v_mul_f64 v[1:2], v[1:2], s[0:1]
	v_mul_f32_e32 v5, v4, v19
	v_fmac_f32_e32 v5, v3, v18
	v_mul_f32_e32 v3, v3, v19
	v_fma_f32 v3, v18, v4, -v3
	v_cvt_f64_f32_e32 v[10:11], v5
	v_cvt_f64_f32_e32 v[3:4], v3
	v_cvt_f32_f64_e32 v8, v[8:9]
	v_cvt_f32_f64_e32 v9, v[1:2]
	v_mul_f64 v[1:2], v[10:11], s[0:1]
	v_mul_f64 v[3:4], v[3:4], s[0:1]
	v_mov_b32_e32 v5, s3
	v_add_co_u32_e32 v10, vcc, s2, v12
	v_addc_co_u32_e32 v11, vcc, v13, v5, vcc
	global_store_dwordx2 v[10:11], v[8:9], off
	v_cvt_f32_f64_e32 v1, v[1:2]
	v_cvt_f32_f64_e32 v2, v[3:4]
	v_mov_b32_e32 v3, s3
	v_add_co_u32_e32 v4, vcc, s2, v10
	v_addc_co_u32_e32 v5, vcc, v11, v3, vcc
	global_store_dwordx2 v[4:5], v[1:2], off
	global_load_dwordx2 v[8:9], v[6:7], off offset:1664
	ds_read2_b64 v[0:3], v0 offset0:80 offset1:140
	s_waitcnt vmcnt(0) lgkmcnt(0)
	v_mul_f32_e32 v10, v1, v9
	v_fmac_f32_e32 v10, v0, v8
	v_mul_f32_e32 v0, v0, v9
	v_fma_f32 v0, v8, v1, -v0
	v_cvt_f64_f32_e32 v[10:11], v10
	v_cvt_f64_f32_e32 v[0:1], v0
	v_mul_f64 v[8:9], v[10:11], s[0:1]
	v_mul_f64 v[0:1], v[0:1], s[0:1]
	v_cvt_f32_f64_e32 v8, v[8:9]
	v_cvt_f32_f64_e32 v9, v[0:1]
	v_mov_b32_e32 v1, s3
	v_add_co_u32_e32 v0, vcc, s2, v4
	v_addc_co_u32_e32 v1, vcc, v5, v1, vcc
	global_store_dwordx2 v[0:1], v[8:9], off
	global_load_dwordx2 v[4:5], v[6:7], off offset:2144
	s_waitcnt vmcnt(0)
	v_mul_f32_e32 v8, v3, v5
	v_mul_f32_e32 v5, v2, v5
	v_fmac_f32_e32 v8, v2, v4
	v_fma_f32 v4, v4, v3, -v5
	v_cvt_f64_f32_e32 v[2:3], v8
	v_cvt_f64_f32_e32 v[4:5], v4
	v_mov_b32_e32 v8, s3
	v_mul_f64 v[2:3], v[2:3], s[0:1]
	v_mul_f64 v[4:5], v[4:5], s[0:1]
	v_cvt_f32_f64_e32 v2, v[2:3]
	v_cvt_f32_f64_e32 v3, v[4:5]
	v_add_co_u32_e32 v4, vcc, s2, v0
	v_addc_co_u32_e32 v5, vcc, v1, v8, vcc
	global_store_dwordx2 v[4:5], v[2:3], off
	global_load_dwordx2 v[8:9], v[6:7], off offset:2624
	v_add_u32_e32 v0, 0x1800, v61
	ds_read2_b64 v[0:3], v0 offset0:72 offset1:132
	v_add_co_u32_e32 v4, vcc, s2, v4
	s_waitcnt vmcnt(0) lgkmcnt(0)
	v_mul_f32_e32 v10, v1, v9
	v_mul_f32_e32 v9, v0, v9
	v_fmac_f32_e32 v10, v0, v8
	v_fma_f32 v8, v8, v1, -v9
	v_cvt_f64_f32_e32 v[0:1], v10
	v_cvt_f64_f32_e32 v[8:9], v8
	v_mov_b32_e32 v10, s3
	v_addc_co_u32_e32 v5, vcc, v5, v10, vcc
	v_mul_f64 v[0:1], v[0:1], s[0:1]
	v_mul_f64 v[8:9], v[8:9], s[0:1]
	v_cvt_f32_f64_e32 v0, v[0:1]
	v_cvt_f32_f64_e32 v1, v[8:9]
	global_store_dwordx2 v[4:5], v[0:1], off
	global_load_dwordx2 v[0:1], v[6:7], off offset:3104
	s_waitcnt vmcnt(0)
	v_mul_f32_e32 v6, v3, v1
	v_mul_f32_e32 v1, v2, v1
	v_fmac_f32_e32 v6, v2, v0
	v_fma_f32 v2, v0, v3, -v1
	v_cvt_f64_f32_e32 v[0:1], v6
	v_cvt_f64_f32_e32 v[2:3], v2
	v_mov_b32_e32 v6, s3
	v_mul_f64 v[0:1], v[0:1], s[0:1]
	v_mul_f64 v[2:3], v[2:3], s[0:1]
	v_cvt_f32_f64_e32 v0, v[0:1]
	v_cvt_f32_f64_e32 v1, v[2:3]
	v_add_co_u32_e32 v2, vcc, s2, v4
	v_addc_co_u32_e32 v3, vcc, v5, v6, vcc
	global_store_dwordx2 v[2:3], v[0:1], off
.LBB0_23:
	s_endpgm
	.section	.rodata,"a",@progbits
	.p2align	6, 0x0
	.amdhsa_kernel bluestein_single_fwd_len960_dim1_sp_op_CI_CI
		.amdhsa_group_segment_fixed_size 7680
		.amdhsa_private_segment_fixed_size 0
		.amdhsa_kernarg_size 104
		.amdhsa_user_sgpr_count 6
		.amdhsa_user_sgpr_private_segment_buffer 1
		.amdhsa_user_sgpr_dispatch_ptr 0
		.amdhsa_user_sgpr_queue_ptr 0
		.amdhsa_user_sgpr_kernarg_segment_ptr 1
		.amdhsa_user_sgpr_dispatch_id 0
		.amdhsa_user_sgpr_flat_scratch_init 0
		.amdhsa_user_sgpr_private_segment_size 0
		.amdhsa_uses_dynamic_stack 0
		.amdhsa_system_sgpr_private_segment_wavefront_offset 0
		.amdhsa_system_sgpr_workgroup_id_x 1
		.amdhsa_system_sgpr_workgroup_id_y 0
		.amdhsa_system_sgpr_workgroup_id_z 0
		.amdhsa_system_sgpr_workgroup_info 0
		.amdhsa_system_vgpr_workitem_id 0
		.amdhsa_next_free_vgpr 81
		.amdhsa_next_free_sgpr 18
		.amdhsa_reserve_vcc 1
		.amdhsa_reserve_flat_scratch 0
		.amdhsa_float_round_mode_32 0
		.amdhsa_float_round_mode_16_64 0
		.amdhsa_float_denorm_mode_32 3
		.amdhsa_float_denorm_mode_16_64 3
		.amdhsa_dx10_clamp 1
		.amdhsa_ieee_mode 1
		.amdhsa_fp16_overflow 0
		.amdhsa_exception_fp_ieee_invalid_op 0
		.amdhsa_exception_fp_denorm_src 0
		.amdhsa_exception_fp_ieee_div_zero 0
		.amdhsa_exception_fp_ieee_overflow 0
		.amdhsa_exception_fp_ieee_underflow 0
		.amdhsa_exception_fp_ieee_inexact 0
		.amdhsa_exception_int_div_zero 0
	.end_amdhsa_kernel
	.text
.Lfunc_end0:
	.size	bluestein_single_fwd_len960_dim1_sp_op_CI_CI, .Lfunc_end0-bluestein_single_fwd_len960_dim1_sp_op_CI_CI
                                        ; -- End function
	.section	.AMDGPU.csdata,"",@progbits
; Kernel info:
; codeLenInByte = 9752
; NumSgprs: 22
; NumVgprs: 81
; ScratchSize: 0
; MemoryBound: 0
; FloatMode: 240
; IeeeMode: 1
; LDSByteSize: 7680 bytes/workgroup (compile time only)
; SGPRBlocks: 2
; VGPRBlocks: 20
; NumSGPRsForWavesPerEU: 22
; NumVGPRsForWavesPerEU: 81
; Occupancy: 3
; WaveLimiterHint : 1
; COMPUTE_PGM_RSRC2:SCRATCH_EN: 0
; COMPUTE_PGM_RSRC2:USER_SGPR: 6
; COMPUTE_PGM_RSRC2:TRAP_HANDLER: 0
; COMPUTE_PGM_RSRC2:TGID_X_EN: 1
; COMPUTE_PGM_RSRC2:TGID_Y_EN: 0
; COMPUTE_PGM_RSRC2:TGID_Z_EN: 0
; COMPUTE_PGM_RSRC2:TIDIG_COMP_CNT: 0
	.type	__hip_cuid_b5e66526525288db,@object ; @__hip_cuid_b5e66526525288db
	.section	.bss,"aw",@nobits
	.globl	__hip_cuid_b5e66526525288db
__hip_cuid_b5e66526525288db:
	.byte	0                               ; 0x0
	.size	__hip_cuid_b5e66526525288db, 1

	.ident	"AMD clang version 19.0.0git (https://github.com/RadeonOpenCompute/llvm-project roc-6.4.0 25133 c7fe45cf4b819c5991fe208aaa96edf142730f1d)"
	.section	".note.GNU-stack","",@progbits
	.addrsig
	.addrsig_sym __hip_cuid_b5e66526525288db
	.amdgpu_metadata
---
amdhsa.kernels:
  - .args:
      - .actual_access:  read_only
        .address_space:  global
        .offset:         0
        .size:           8
        .value_kind:     global_buffer
      - .actual_access:  read_only
        .address_space:  global
        .offset:         8
        .size:           8
        .value_kind:     global_buffer
      - .actual_access:  read_only
        .address_space:  global
        .offset:         16
        .size:           8
        .value_kind:     global_buffer
      - .actual_access:  read_only
        .address_space:  global
        .offset:         24
        .size:           8
        .value_kind:     global_buffer
      - .actual_access:  read_only
        .address_space:  global
        .offset:         32
        .size:           8
        .value_kind:     global_buffer
      - .offset:         40
        .size:           8
        .value_kind:     by_value
      - .address_space:  global
        .offset:         48
        .size:           8
        .value_kind:     global_buffer
      - .address_space:  global
        .offset:         56
        .size:           8
        .value_kind:     global_buffer
      - .address_space:  global
        .offset:         64
        .size:           8
        .value_kind:     global_buffer
      - .address_space:  global
        .offset:         72
        .size:           8
        .value_kind:     global_buffer
      - .offset:         80
        .size:           4
        .value_kind:     by_value
      - .address_space:  global
        .offset:         88
        .size:           8
        .value_kind:     global_buffer
      - .address_space:  global
        .offset:         96
        .size:           8
        .value_kind:     global_buffer
    .group_segment_fixed_size: 7680
    .kernarg_segment_align: 8
    .kernarg_segment_size: 104
    .language:       OpenCL C
    .language_version:
      - 2
      - 0
    .max_flat_workgroup_size: 160
    .name:           bluestein_single_fwd_len960_dim1_sp_op_CI_CI
    .private_segment_fixed_size: 0
    .sgpr_count:     22
    .sgpr_spill_count: 0
    .symbol:         bluestein_single_fwd_len960_dim1_sp_op_CI_CI.kd
    .uniform_work_group_size: 1
    .uses_dynamic_stack: false
    .vgpr_count:     81
    .vgpr_spill_count: 0
    .wavefront_size: 64
amdhsa.target:   amdgcn-amd-amdhsa--gfx906
amdhsa.version:
  - 1
  - 2
...

	.end_amdgpu_metadata
